;; amdgpu-corpus repo=triton-lang/triton kind=triton arch=gfx950 opt=O3 lang=triton
	.amdgcn_target "amdgcn-amd-amdhsa--gfx950"
	.amdhsa_code_object_version 5
	.text
	.globl	indirect_matmul_kernel          ; -- Begin function indirect_matmul_kernel
	.p2align	8
	.type	indirect_matmul_kernel,@function
indirect_matmul_kernel:                 ; @indirect_matmul_kernel
.Lfunc_begin0:
	.cfi_sections .debug_frame
	.cfi_startproc
; %bb.75:
	.file	1 "/root/src/amdgpu-assembly/repos/triton-lang__triton-aot" "indirect_matmul.py"
	.loc	1 8 0 prologue_end              ; indirect_matmul.py:8:0
	s_load_dwordx2 s[2:3], s[0:1], 0x0
	s_load_dwordx8 s[4:11], s[0:1], 0x8
	s_load_dwordx4 s[12:15], s[0:1], 0x28
	s_waitcnt lgkmcnt(0)
	s_branch .LBB0_0
	.loc	1 0 0 is_stmt 0                 ; :0:0
.Ltmp0:
	.p2align	8
; %bb.76:
.LBB0_0:
	s_load_dword s5, s[0:1], 0x38
.Ltmp1:
	.loc	1 42 28 is_stmt 1               ; indirect_matmul.py:42:28
	v_readfirstlane_b32 s13, v0
	.loc	1 23 40                         ; indirect_matmul.py:23:40
	s_bfe_u32 s0, s13, 0x20006
	.loc	1 43 23                         ; indirect_matmul.py:43:23
	s_and_b32 s9, s13, 0xc0
	.loc	1 23 40                         ; indirect_matmul.py:23:40
	s_lshl_b32 s22, s0, 2
	.loc	1 33 22                         ; indirect_matmul.py:33:22
	s_and_b32 s17, s15, 0xffff
	s_lshr_b32 s16, s9, 4
	s_or_b32 s18, s22, 16
	s_or_b32 s19, s22, 32
	;; [unrolled: 1-line block ×15, first 2 shown]
	.loc	1 32 25                         ; indirect_matmul.py:32:25
	s_waitcnt lgkmcnt(0)
	s_cmp_gt_i32 s5, 0
	s_cselect_b64 s[20:21], -1, 0
	.loc	1 33 22                         ; indirect_matmul.py:33:22
	s_and_b64 s[0:1], s[20:21], exec
	s_cselect_b32 s0, s16, 0x80000000
	s_cselect_b32 s1, s18, 0x80000000
	;; [unrolled: 1-line block ×9, first 2 shown]
	s_mov_b32 s19, 0x27000
	s_mov_b32 s18, 0x7ffffffe
	;; [unrolled: 1-line block ×3, first 2 shown]
	v_mov_b32_e32 v1, s0
	s_cselect_b32 s29, s29, 0x80000000
	s_cselect_b32 s30, s30, 0x80000000
	;; [unrolled: 1-line block ×7, first 2 shown]
	v_mov_b32_e32 v2, s1
	v_mov_b32_e32 v3, s37
	;; [unrolled: 1-line block ×7, first 2 shown]
	buffer_load_dword v9, v1, s[16:19], 0 offen
	buffer_load_dword v10, v2, s[16:19], 0 offen
	buffer_load_dword v11, v3, s[16:19], 0 offen
	buffer_load_dword v12, v4, s[16:19], 0 offen
	buffer_load_dword v13, v5, s[16:19], 0 offen
	buffer_load_dword v14, v6, s[16:19], 0 offen
	buffer_load_dword v15, v7, s[16:19], 0 offen
	buffer_load_dword v16, v8, s[16:19], 0 offen
	v_mov_b32_e32 v1, s28
	v_mov_b32_e32 v2, s29
	v_mov_b32_e32 v3, s30
	v_mov_b32_e32 v4, s31
	v_mov_b32_e32 v5, s33
	v_mov_b32_e32 v6, s34
	v_mov_b32_e32 v7, s35
	v_mov_b32_e32 v8, s36
	buffer_load_dword v17, v1, s[16:19], 0 offen
	buffer_load_dword v18, v2, s[16:19], 0 offen
	;; [unrolled: 1-line block ×8, first 2 shown]
	.loc	1 23 40                         ; indirect_matmul.py:23:40
	v_and_b32_e32 v2, 63, v0
	.loc	1 28 17                         ; indirect_matmul.py:28:17
	v_mov_b32_e32 v5, 0
	v_lshlrev_b32_e32 v4, 1, v2
	.loc	1 32 25                         ; indirect_matmul.py:32:25
	s_cmp_lt_i32 s5, 1
	.loc	1 33 22                         ; indirect_matmul.py:33:22
	s_waitcnt vmcnt(15)
	v_readfirstlane_b32 s35, v9
	s_waitcnt vmcnt(14)
	v_readfirstlane_b32 s34, v10
	;; [unrolled: 2-line block ×16, first 2 shown]
	.loc	1 28 17                         ; indirect_matmul.py:28:17
	v_lshl_add_u64 v[18:19], s[6:7], 0, v[4:5]
	.loc	1 35 20                         ; indirect_matmul.py:35:20
	s_cbranch_scc1 .LBB0_2
; %bb.1:
	.loc	1 0 20 is_stmt 0                ; indirect_matmul.py:0:20
	s_mul_i32 s0, s35, s8
	s_ashr_i32 s1, s0, 31
	v_lshl_add_u64 v[4:5], s[0:1], 1, v[18:19]
	.loc	1 35 20                         ; indirect_matmul.py:35:20
	global_load_ushort v5, v[4:5], off
.LBB0_2:
	v_cndmask_b32_e64 v1, 0, 1, s[20:21]
	v_cmp_ne_u32_e64 s[0:1], 1, v1
	s_andn2_b64 vcc, exec, s[20:21]
	s_cbranch_vccnz .LBB0_34
; %bb.3:
	.loc	1 35 44                         ; indirect_matmul.py:35:44
	s_mul_i32 s6, s34, s8
	.loc	1 35 29                         ; indirect_matmul.py:35:29
	s_ashr_i32 s7, s6, 31
	v_lshl_add_u64 v[6:7], s[6:7], 1, v[18:19]
	.loc	1 35 20                         ; indirect_matmul.py:35:20
	global_load_ushort v3, v[6:7], off
	s_and_b64 vcc, exec, s[0:1]
	s_cbranch_vccnz .LBB0_35
.LBB0_4:
	.loc	1 35 44                         ; indirect_matmul.py:35:44
	s_mul_i32 s6, s33, s8
	.loc	1 35 29                         ; indirect_matmul.py:35:29
	s_ashr_i32 s7, s6, 31
	v_lshl_add_u64 v[6:7], s[6:7], 1, v[18:19]
	.loc	1 35 20                         ; indirect_matmul.py:35:20
	global_load_ushort v4, v[6:7], off
	s_and_b64 vcc, exec, s[0:1]
	s_cbranch_vccnz .LBB0_36
.LBB0_5:
	.loc	1 35 44                         ; indirect_matmul.py:35:44
	s_mul_i32 s6, s31, s8
	.loc	1 35 29                         ; indirect_matmul.py:35:29
	s_ashr_i32 s7, s6, 31
	v_lshl_add_u64 v[6:7], s[6:7], 1, v[18:19]
	.loc	1 35 20                         ; indirect_matmul.py:35:20
	global_load_ushort v8, v[6:7], off
	s_and_b64 vcc, exec, s[0:1]
	s_cbranch_vccnz .LBB0_37
.LBB0_6:
	.loc	1 35 44                         ; indirect_matmul.py:35:44
	s_mul_i32 s6, s30, s8
	.loc	1 35 29                         ; indirect_matmul.py:35:29
	s_ashr_i32 s7, s6, 31
	v_lshl_add_u64 v[6:7], s[6:7], 1, v[18:19]
	.loc	1 35 20                         ; indirect_matmul.py:35:20
	global_load_ushort v9, v[6:7], off
	s_and_b64 vcc, exec, s[0:1]
	s_cbranch_vccnz .LBB0_38
.LBB0_7:
	.loc	1 35 44                         ; indirect_matmul.py:35:44
	s_mul_i32 s6, s29, s8
	.loc	1 35 29                         ; indirect_matmul.py:35:29
	s_ashr_i32 s7, s6, 31
	v_lshl_add_u64 v[6:7], s[6:7], 1, v[18:19]
	.loc	1 35 20                         ; indirect_matmul.py:35:20
	global_load_ushort v10, v[6:7], off
	s_and_b64 vcc, exec, s[0:1]
	s_cbranch_vccnz .LBB0_39
.LBB0_8:
	.loc	1 35 44                         ; indirect_matmul.py:35:44
	s_mul_i32 s6, s28, s8
	.loc	1 35 29                         ; indirect_matmul.py:35:29
	s_ashr_i32 s7, s6, 31
	v_lshl_add_u64 v[6:7], s[6:7], 1, v[18:19]
	.loc	1 35 20                         ; indirect_matmul.py:35:20
	global_load_ushort v11, v[6:7], off
	s_and_b64 vcc, exec, s[0:1]
	s_cbranch_vccnz .LBB0_40
.LBB0_9:
	.loc	1 35 44                         ; indirect_matmul.py:35:44
	s_mul_i32 s6, s27, s8
	.loc	1 35 29                         ; indirect_matmul.py:35:29
	s_ashr_i32 s7, s6, 31
	v_lshl_add_u64 v[6:7], s[6:7], 1, v[18:19]
	.loc	1 35 20                         ; indirect_matmul.py:35:20
	global_load_ushort v12, v[6:7], off
	s_and_b64 vcc, exec, s[0:1]
	s_cbranch_vccnz .LBB0_41
.LBB0_10:
	.loc	1 35 44                         ; indirect_matmul.py:35:44
	s_mul_i32 s6, s26, s8
	.loc	1 35 29                         ; indirect_matmul.py:35:29
	s_ashr_i32 s7, s6, 31
	v_lshl_add_u64 v[6:7], s[6:7], 1, v[18:19]
	.loc	1 35 20                         ; indirect_matmul.py:35:20
	global_load_ushort v13, v[6:7], off
	s_and_b64 vcc, exec, s[0:1]
	s_cbranch_vccnz .LBB0_42
.LBB0_11:
	.loc	1 35 44                         ; indirect_matmul.py:35:44
	s_mul_i32 s6, s25, s8
	.loc	1 35 29                         ; indirect_matmul.py:35:29
	s_ashr_i32 s7, s6, 31
	v_lshl_add_u64 v[6:7], s[6:7], 1, v[18:19]
	.loc	1 35 20                         ; indirect_matmul.py:35:20
	global_load_ushort v14, v[6:7], off
	s_and_b64 vcc, exec, s[0:1]
	s_cbranch_vccnz .LBB0_43
.LBB0_12:
	.loc	1 35 44                         ; indirect_matmul.py:35:44
	s_mul_i32 s6, s24, s8
	.loc	1 35 29                         ; indirect_matmul.py:35:29
	s_ashr_i32 s7, s6, 31
	v_lshl_add_u64 v[6:7], s[6:7], 1, v[18:19]
	.loc	1 35 20                         ; indirect_matmul.py:35:20
	global_load_ushort v15, v[6:7], off
	s_and_b64 vcc, exec, s[0:1]
	s_cbranch_vccnz .LBB0_44
.LBB0_13:
	.loc	1 35 44                         ; indirect_matmul.py:35:44
	s_mul_i32 s6, s23, s8
	.loc	1 35 29                         ; indirect_matmul.py:35:29
	s_ashr_i32 s7, s6, 31
	v_lshl_add_u64 v[6:7], s[6:7], 1, v[18:19]
	.loc	1 35 20                         ; indirect_matmul.py:35:20
	global_load_ushort v16, v[6:7], off
	s_and_b64 vcc, exec, s[0:1]
	s_cbranch_vccnz .LBB0_45
.LBB0_14:
	.loc	1 35 44                         ; indirect_matmul.py:35:44
	s_mul_i32 s6, s19, s8
	.loc	1 35 29                         ; indirect_matmul.py:35:29
	s_ashr_i32 s7, s6, 31
	v_lshl_add_u64 v[6:7], s[6:7], 1, v[18:19]
	.loc	1 35 20                         ; indirect_matmul.py:35:20
	global_load_ushort v17, v[6:7], off
	s_and_b64 vcc, exec, s[0:1]
	s_cbranch_vccnz .LBB0_46
.LBB0_15:
	.loc	1 35 44                         ; indirect_matmul.py:35:44
	s_mul_i32 s6, s18, s8
	.loc	1 35 29                         ; indirect_matmul.py:35:29
	s_ashr_i32 s7, s6, 31
	v_lshl_add_u64 v[6:7], s[6:7], 1, v[18:19]
	.loc	1 35 20                         ; indirect_matmul.py:35:20
	global_load_ushort v22, v[6:7], off
	s_and_b64 vcc, exec, s[0:1]
	s_cbranch_vccnz .LBB0_47
.LBB0_16:
	.loc	1 35 44                         ; indirect_matmul.py:35:44
	s_mul_i32 s6, s17, s8
	.loc	1 35 29                         ; indirect_matmul.py:35:29
	s_ashr_i32 s7, s6, 31
	v_lshl_add_u64 v[6:7], s[6:7], 1, v[18:19]
	.loc	1 35 20                         ; indirect_matmul.py:35:20
	global_load_ushort v25, v[6:7], off
	s_and_b64 vcc, exec, s[0:1]
	v_mov_b32_e32 v7, 0
	s_cbranch_vccnz .LBB0_48
.LBB0_17:
	.loc	1 35 44                         ; indirect_matmul.py:35:44
	s_mul_i32 s6, s16, s8
	.loc	1 35 29                         ; indirect_matmul.py:35:29
	s_ashr_i32 s7, s6, 31
	v_lshl_add_u64 v[20:21], s[6:7], 1, v[18:19]
	.loc	1 35 20                         ; indirect_matmul.py:35:20
	global_load_ushort v28, v[20:21], off
	.loc	1 29 17 is_stmt 1               ; indirect_matmul.py:29:17
	v_lshlrev_b32_e32 v6, 1, v2
	.loc	1 36 20                         ; indirect_matmul.py:36:20
	s_and_b64 vcc, exec, s[0:1]
	.loc	1 29 17                         ; indirect_matmul.py:29:17
	v_lshl_add_u64 v[20:21], s[10:11], 0, v[6:7]
	.loc	1 36 20                         ; indirect_matmul.py:36:20
	s_cbranch_vccnz .LBB0_49
.LBB0_18:
	.loc	1 0 20 is_stmt 0                ; indirect_matmul.py:0:20
	s_mul_i32 s6, s35, s12
	s_ashr_i32 s7, s6, 31
	v_lshl_add_u64 v[6:7], s[6:7], 1, v[20:21]
	.loc	1 36 20                         ; indirect_matmul.py:36:20
	global_load_ushort v6, v[6:7], off
	s_and_b64 vcc, exec, s[0:1]
	s_cbranch_vccnz .LBB0_50
.LBB0_19:
	.loc	1 36 44                         ; indirect_matmul.py:36:44
	s_mul_i32 s6, s34, s12
	.loc	1 36 29                         ; indirect_matmul.py:36:29
	s_ashr_i32 s7, s6, 31
	v_lshl_add_u64 v[26:27], s[6:7], 1, v[20:21]
	.loc	1 36 20                         ; indirect_matmul.py:36:20
	global_load_ushort v7, v[26:27], off
	s_and_b64 vcc, exec, s[0:1]
	s_cbranch_vccnz .LBB0_51
.LBB0_20:
	.loc	1 36 44                         ; indirect_matmul.py:36:44
	s_mul_i32 s6, s33, s12
	.loc	1 36 29                         ; indirect_matmul.py:36:29
	s_ashr_i32 s7, s6, 31
	v_lshl_add_u64 v[26:27], s[6:7], 1, v[20:21]
	.loc	1 36 20                         ; indirect_matmul.py:36:20
	global_load_ushort v31, v[26:27], off
	s_and_b64 vcc, exec, s[0:1]
	s_cbranch_vccnz .LBB0_52
.LBB0_21:
	.loc	1 36 44                         ; indirect_matmul.py:36:44
	s_mul_i32 s6, s31, s12
	.loc	1 36 29                         ; indirect_matmul.py:36:29
	s_ashr_i32 s7, s6, 31
	v_lshl_add_u64 v[26:27], s[6:7], 1, v[20:21]
	.loc	1 36 20                         ; indirect_matmul.py:36:20
	global_load_ushort v32, v[26:27], off
	s_and_b64 vcc, exec, s[0:1]
	s_cbranch_vccnz .LBB0_53
.LBB0_22:
	.loc	1 36 44                         ; indirect_matmul.py:36:44
	s_mul_i32 s6, s30, s12
	.loc	1 36 29                         ; indirect_matmul.py:36:29
	s_ashr_i32 s7, s6, 31
	v_lshl_add_u64 v[26:27], s[6:7], 1, v[20:21]
	.loc	1 36 20                         ; indirect_matmul.py:36:20
	global_load_ushort v29, v[26:27], off
	s_and_b64 vcc, exec, s[0:1]
	s_cbranch_vccnz .LBB0_54
.LBB0_23:
	.loc	1 36 44                         ; indirect_matmul.py:36:44
	s_mul_i32 s6, s29, s12
	.loc	1 36 29                         ; indirect_matmul.py:36:29
	s_ashr_i32 s7, s6, 31
	v_lshl_add_u64 v[26:27], s[6:7], 1, v[20:21]
	.loc	1 36 20                         ; indirect_matmul.py:36:20
	global_load_ushort v30, v[26:27], off
	s_and_b64 vcc, exec, s[0:1]
	s_cbranch_vccnz .LBB0_55
.LBB0_24:
	.loc	1 36 44                         ; indirect_matmul.py:36:44
	s_mul_i32 s6, s28, s12
	.loc	1 36 29                         ; indirect_matmul.py:36:29
	s_ashr_i32 s7, s6, 31
	v_lshl_add_u64 v[26:27], s[6:7], 1, v[20:21]
	.loc	1 36 20                         ; indirect_matmul.py:36:20
	global_load_ushort v33, v[26:27], off
	s_and_b64 vcc, exec, s[0:1]
	s_cbranch_vccnz .LBB0_56
.LBB0_25:
	.loc	1 36 44                         ; indirect_matmul.py:36:44
	s_mul_i32 s6, s27, s12
	.loc	1 36 29                         ; indirect_matmul.py:36:29
	s_ashr_i32 s7, s6, 31
	v_lshl_add_u64 v[26:27], s[6:7], 1, v[20:21]
	.loc	1 36 20                         ; indirect_matmul.py:36:20
	global_load_ushort v34, v[26:27], off
	s_and_b64 vcc, exec, s[0:1]
	s_cbranch_vccnz .LBB0_57
.LBB0_26:
	.loc	1 36 44                         ; indirect_matmul.py:36:44
	s_mul_i32 s6, s26, s12
	.loc	1 36 29                         ; indirect_matmul.py:36:29
	s_ashr_i32 s7, s6, 31
	v_lshl_add_u64 v[26:27], s[6:7], 1, v[20:21]
	.loc	1 36 20                         ; indirect_matmul.py:36:20
	global_load_ushort v35, v[26:27], off
	s_and_b64 vcc, exec, s[0:1]
	s_cbranch_vccnz .LBB0_58
.LBB0_27:
	.loc	1 36 44                         ; indirect_matmul.py:36:44
	s_mul_i32 s6, s25, s12
	.loc	1 36 29                         ; indirect_matmul.py:36:29
	s_ashr_i32 s7, s6, 31
	v_lshl_add_u64 v[26:27], s[6:7], 1, v[20:21]
	.loc	1 36 20                         ; indirect_matmul.py:36:20
	global_load_ushort v36, v[26:27], off
	s_and_b64 vcc, exec, s[0:1]
	s_cbranch_vccnz .LBB0_59
.LBB0_28:
	.loc	1 36 44                         ; indirect_matmul.py:36:44
	s_mul_i32 s6, s24, s12
	.loc	1 36 29                         ; indirect_matmul.py:36:29
	s_ashr_i32 s7, s6, 31
	v_lshl_add_u64 v[26:27], s[6:7], 1, v[20:21]
	.loc	1 36 20                         ; indirect_matmul.py:36:20
	global_load_ushort v37, v[26:27], off
	s_and_b64 vcc, exec, s[0:1]
	s_cbranch_vccnz .LBB0_60
.LBB0_29:
	.loc	1 36 44                         ; indirect_matmul.py:36:44
	s_mul_i32 s6, s23, s12
	.loc	1 36 29                         ; indirect_matmul.py:36:29
	s_ashr_i32 s7, s6, 31
	v_lshl_add_u64 v[26:27], s[6:7], 1, v[20:21]
	.loc	1 36 20                         ; indirect_matmul.py:36:20
	global_load_ushort v38, v[26:27], off
	s_and_b64 vcc, exec, s[0:1]
	s_cbranch_vccnz .LBB0_61
.LBB0_30:
	.loc	1 36 44                         ; indirect_matmul.py:36:44
	s_mul_i32 s6, s19, s12
	.loc	1 36 29                         ; indirect_matmul.py:36:29
	s_ashr_i32 s7, s6, 31
	v_lshl_add_u64 v[26:27], s[6:7], 1, v[20:21]
	.loc	1 36 20                         ; indirect_matmul.py:36:20
	global_load_ushort v39, v[26:27], off
	s_and_b64 vcc, exec, s[0:1]
	s_cbranch_vccnz .LBB0_62
.LBB0_31:
	.loc	1 36 44                         ; indirect_matmul.py:36:44
	s_mul_i32 s6, s18, s12
	.loc	1 36 29                         ; indirect_matmul.py:36:29
	s_ashr_i32 s7, s6, 31
	v_lshl_add_u64 v[26:27], s[6:7], 1, v[20:21]
	.loc	1 36 20                         ; indirect_matmul.py:36:20
	global_load_ushort v40, v[26:27], off
	s_and_b64 vcc, exec, s[0:1]
	s_cbranch_vccnz .LBB0_63
.LBB0_32:
	.loc	1 36 44                         ; indirect_matmul.py:36:44
	s_mul_i32 s6, s17, s12
	.loc	1 36 29                         ; indirect_matmul.py:36:29
	s_ashr_i32 s7, s6, 31
	v_lshl_add_u64 v[26:27], s[6:7], 1, v[20:21]
	.loc	1 36 20                         ; indirect_matmul.py:36:20
	global_load_ushort v41, v[26:27], off
	s_and_b64 vcc, exec, s[0:1]
	s_cbranch_vccnz .LBB0_64
.LBB0_33:
	.loc	1 36 44                         ; indirect_matmul.py:36:44
	s_mul_i32 s0, s16, s12
	.loc	1 36 29                         ; indirect_matmul.py:36:29
	s_ashr_i32 s1, s0, 31
	v_lshl_add_u64 v[26:27], s[0:1], 1, v[20:21]
	.loc	1 36 20                         ; indirect_matmul.py:36:20
	global_load_ushort v42, v[26:27], off
	s_branch .LBB0_65
.LBB0_34:
	.loc	1 0 20                          ; indirect_matmul.py:0:20
	v_mov_b32_e32 v3, 0
	.loc	1 35 20 is_stmt 1               ; indirect_matmul.py:35:20
	s_and_b64 vcc, exec, s[0:1]
	s_cbranch_vccz .LBB0_4
.LBB0_35:
	.loc	1 0 20 is_stmt 0                ; indirect_matmul.py:0:20
	v_mov_b32_e32 v4, 0
	.loc	1 35 20                         ; indirect_matmul.py:35:20
	s_and_b64 vcc, exec, s[0:1]
	s_cbranch_vccz .LBB0_5
.LBB0_36:
	.loc	1 0 20                          ; indirect_matmul.py:0:20
	v_mov_b32_e32 v8, 0
	.loc	1 35 20                         ; indirect_matmul.py:35:20
	s_and_b64 vcc, exec, s[0:1]
	s_cbranch_vccz .LBB0_6
.LBB0_37:
	.loc	1 0 20                          ; indirect_matmul.py:0:20
	v_mov_b32_e32 v9, 0
	.loc	1 35 20                         ; indirect_matmul.py:35:20
	s_and_b64 vcc, exec, s[0:1]
	s_cbranch_vccz .LBB0_7
.LBB0_38:
	.loc	1 0 20                          ; indirect_matmul.py:0:20
	v_mov_b32_e32 v10, 0
	.loc	1 35 20                         ; indirect_matmul.py:35:20
	s_and_b64 vcc, exec, s[0:1]
	s_cbranch_vccz .LBB0_8
.LBB0_39:
	.loc	1 0 20                          ; indirect_matmul.py:0:20
	v_mov_b32_e32 v11, 0
	.loc	1 35 20                         ; indirect_matmul.py:35:20
	s_and_b64 vcc, exec, s[0:1]
	s_cbranch_vccz .LBB0_9
.LBB0_40:
	.loc	1 0 20                          ; indirect_matmul.py:0:20
	v_mov_b32_e32 v12, 0
	.loc	1 35 20                         ; indirect_matmul.py:35:20
	s_and_b64 vcc, exec, s[0:1]
	s_cbranch_vccz .LBB0_10
.LBB0_41:
	.loc	1 0 20                          ; indirect_matmul.py:0:20
	v_mov_b32_e32 v13, 0
	.loc	1 35 20                         ; indirect_matmul.py:35:20
	s_and_b64 vcc, exec, s[0:1]
	s_cbranch_vccz .LBB0_11
.LBB0_42:
	.loc	1 0 20                          ; indirect_matmul.py:0:20
	v_mov_b32_e32 v14, 0
	.loc	1 35 20                         ; indirect_matmul.py:35:20
	s_and_b64 vcc, exec, s[0:1]
	s_cbranch_vccz .LBB0_12
.LBB0_43:
	.loc	1 0 20                          ; indirect_matmul.py:0:20
	v_mov_b32_e32 v15, 0
	.loc	1 35 20                         ; indirect_matmul.py:35:20
	s_and_b64 vcc, exec, s[0:1]
	s_cbranch_vccz .LBB0_13
.LBB0_44:
	.loc	1 0 20                          ; indirect_matmul.py:0:20
	v_mov_b32_e32 v16, 0
	.loc	1 35 20                         ; indirect_matmul.py:35:20
	s_and_b64 vcc, exec, s[0:1]
	s_cbranch_vccz .LBB0_14
.LBB0_45:
	.loc	1 0 20                          ; indirect_matmul.py:0:20
	v_mov_b32_e32 v17, 0
	.loc	1 35 20                         ; indirect_matmul.py:35:20
	s_and_b64 vcc, exec, s[0:1]
	s_cbranch_vccz .LBB0_15
.LBB0_46:
	.loc	1 0 20                          ; indirect_matmul.py:0:20
	v_mov_b32_e32 v22, 0
	.loc	1 35 20                         ; indirect_matmul.py:35:20
	s_and_b64 vcc, exec, s[0:1]
	s_cbranch_vccz .LBB0_16
.LBB0_47:
	.loc	1 0 20                          ; indirect_matmul.py:0:20
	v_mov_b32_e32 v25, 0
	.loc	1 35 20                         ; indirect_matmul.py:35:20
	s_and_b64 vcc, exec, s[0:1]
	v_mov_b32_e32 v7, 0
	s_cbranch_vccz .LBB0_17
.LBB0_48:
	.loc	1 0 20                          ; indirect_matmul.py:0:20
	v_mov_b32_e32 v28, 0
	.loc	1 29 17 is_stmt 1               ; indirect_matmul.py:29:17
	v_lshlrev_b32_e32 v6, 1, v2
	.loc	1 36 20                         ; indirect_matmul.py:36:20
	s_and_b64 vcc, exec, s[0:1]
	.loc	1 29 17                         ; indirect_matmul.py:29:17
	v_lshl_add_u64 v[20:21], s[10:11], 0, v[6:7]
	.loc	1 36 20                         ; indirect_matmul.py:36:20
	s_cbranch_vccz .LBB0_18
.LBB0_49:
	.loc	1 0 20 is_stmt 0                ; indirect_matmul.py:0:20
	v_mov_b32_e32 v6, 0
	.loc	1 36 20                         ; indirect_matmul.py:36:20
	s_and_b64 vcc, exec, s[0:1]
	s_cbranch_vccz .LBB0_19
.LBB0_50:
	.loc	1 0 20                          ; indirect_matmul.py:0:20
	v_mov_b32_e32 v7, 0
	.loc	1 36 20                         ; indirect_matmul.py:36:20
	s_and_b64 vcc, exec, s[0:1]
	s_cbranch_vccz .LBB0_20
.LBB0_51:
	.loc	1 0 20                          ; indirect_matmul.py:0:20
	v_mov_b32_e32 v31, 0
	.loc	1 36 20                         ; indirect_matmul.py:36:20
	s_and_b64 vcc, exec, s[0:1]
	s_cbranch_vccz .LBB0_21
.LBB0_52:
	.loc	1 0 20                          ; indirect_matmul.py:0:20
	v_mov_b32_e32 v32, 0
	.loc	1 36 20                         ; indirect_matmul.py:36:20
	s_and_b64 vcc, exec, s[0:1]
	s_cbranch_vccz .LBB0_22
.LBB0_53:
	.loc	1 0 20                          ; indirect_matmul.py:0:20
	v_mov_b32_e32 v29, 0
	.loc	1 36 20                         ; indirect_matmul.py:36:20
	s_and_b64 vcc, exec, s[0:1]
	s_cbranch_vccz .LBB0_23
.LBB0_54:
	.loc	1 0 20                          ; indirect_matmul.py:0:20
	v_mov_b32_e32 v30, 0
	.loc	1 36 20                         ; indirect_matmul.py:36:20
	s_and_b64 vcc, exec, s[0:1]
	s_cbranch_vccz .LBB0_24
.LBB0_55:
	.loc	1 0 20                          ; indirect_matmul.py:0:20
	v_mov_b32_e32 v33, 0
	.loc	1 36 20                         ; indirect_matmul.py:36:20
	s_and_b64 vcc, exec, s[0:1]
	s_cbranch_vccz .LBB0_25
.LBB0_56:
	.loc	1 0 20                          ; indirect_matmul.py:0:20
	v_mov_b32_e32 v34, 0
	.loc	1 36 20                         ; indirect_matmul.py:36:20
	s_and_b64 vcc, exec, s[0:1]
	s_cbranch_vccz .LBB0_26
.LBB0_57:
	.loc	1 0 20                          ; indirect_matmul.py:0:20
	v_mov_b32_e32 v35, 0
	.loc	1 36 20                         ; indirect_matmul.py:36:20
	s_and_b64 vcc, exec, s[0:1]
	s_cbranch_vccz .LBB0_27
.LBB0_58:
	.loc	1 0 20                          ; indirect_matmul.py:0:20
	v_mov_b32_e32 v36, 0
	.loc	1 36 20                         ; indirect_matmul.py:36:20
	s_and_b64 vcc, exec, s[0:1]
	s_cbranch_vccz .LBB0_28
.LBB0_59:
	.loc	1 0 20                          ; indirect_matmul.py:0:20
	v_mov_b32_e32 v37, 0
	.loc	1 36 20                         ; indirect_matmul.py:36:20
	s_and_b64 vcc, exec, s[0:1]
	s_cbranch_vccz .LBB0_29
.LBB0_60:
	.loc	1 0 20                          ; indirect_matmul.py:0:20
	v_mov_b32_e32 v38, 0
	.loc	1 36 20                         ; indirect_matmul.py:36:20
	s_and_b64 vcc, exec, s[0:1]
	s_cbranch_vccz .LBB0_30
.LBB0_61:
	.loc	1 0 20                          ; indirect_matmul.py:0:20
	v_mov_b32_e32 v39, 0
	.loc	1 36 20                         ; indirect_matmul.py:36:20
	s_and_b64 vcc, exec, s[0:1]
	s_cbranch_vccz .LBB0_31
.LBB0_62:
	.loc	1 0 20                          ; indirect_matmul.py:0:20
	v_mov_b32_e32 v40, 0
	.loc	1 36 20                         ; indirect_matmul.py:36:20
	s_and_b64 vcc, exec, s[0:1]
	s_cbranch_vccz .LBB0_32
.LBB0_63:
	.loc	1 0 20                          ; indirect_matmul.py:0:20
	v_mov_b32_e32 v41, 0
	.loc	1 36 20                         ; indirect_matmul.py:36:20
	s_and_b64 vcc, exec, s[0:1]
	s_cbranch_vccz .LBB0_33
.LBB0_64:
	.loc	1 0 20                          ; indirect_matmul.py:0:20
	v_mov_b32_e32 v42, 0
.LBB0_65:
	.loc	1 23 40 is_stmt 1               ; indirect_matmul.py:23:40
	v_or_b32_e32 v2, s9, v2
	.loc	1 35 20                         ; indirect_matmul.py:35:20
	s_bfe_i32 s6, s13, 0x10007
	v_lshlrev_b32_e32 v2, 1, v2
	s_and_b32 s7, s6, 0x110
	v_mov_b32_e32 v43, 0xfe
	v_bitop3_b32 v27, v2, s7, v43 bitop3:0x6c
	v_add_u32_e32 v23, 0, v27
	s_waitcnt vmcnt(0)
	ds_write_b16 v23, v5 offset:8192
	ds_write_b16 v23, v9 offset:10240
	;; [unrolled: 1-line block ×4, first 2 shown]
	v_xor_b32_e32 v5, 32, v27
	v_add_u32_e32 v24, 0, v5
	ds_write_b16 v24, v3 offset:8704
	ds_write_b16 v24, v10 offset:10752
	;; [unrolled: 1-line block ×4, first 2 shown]
	v_xor_b32_e32 v3, 64, v27
	v_add_u32_e32 v26, 0, v3
	v_xor_b32_e32 v3, 0x60, v27
	.loc	1 36 20                         ; indirect_matmul.py:36:20
	s_and_b32 s6, s6, 0x102
	.loc	1 35 20                         ; indirect_matmul.py:35:20
	v_add_u32_e32 v27, 0, v3
	.loc	1 36 20                         ; indirect_matmul.py:36:20
	v_bitop3_b32 v2, v2, s6, v43 bitop3:0x6c
	.loc	1 35 20                         ; indirect_matmul.py:35:20
	ds_write_b16 v27, v8 offset:9728
	ds_write_b16 v27, v12 offset:11776
	;; [unrolled: 1-line block ×4, first 2 shown]
	.loc	1 36 20                         ; indirect_matmul.py:36:20
	v_add_u32_e32 v28, 0, v2
	v_xor_b32_e32 v3, 4, v2
	ds_write_b16 v28, v6
	ds_write_b16 v28, v29 offset:2048
	ds_write_b16 v28, v35 offset:4096
	ds_write_b16 v28, v39 offset:6144
	v_add_u32_e32 v29, 0, v3
	v_xor_b32_e32 v3, 8, v2
	ds_write_b16 v29, v7 offset:512
	ds_write_b16 v29, v30 offset:2560
	;; [unrolled: 1-line block ×4, first 2 shown]
	v_add_u32_e32 v30, 0, v3
	v_xor_b32_e32 v2, 12, v2
	ds_write_b16 v30, v31 offset:1024
	ds_write_b16 v30, v33 offset:3072
	;; [unrolled: 1-line block ×4, first 2 shown]
	v_add_u32_e32 v31, 0, v2
	v_lshlrev_b32_e32 v2, 5, v0
	v_and_b32_e32 v3, 0x580, v2
	v_lshlrev_b32_e32 v2, 3, v0
	.loc	1 35 20                         ; indirect_matmul.py:35:20
	ds_write_b16 v26, v4 offset:9216
	ds_write_b16 v26, v11 offset:11264
	;; [unrolled: 1-line block ×4, first 2 shown]
	v_and_b32_e32 v4, 24, v2
	v_lshlrev_b32_e32 v2, 1, v0
	v_and_b32_e32 v5, 0x70, v2
	.loc	1 26 35                         ; indirect_matmul.py:26:35
	s_and_b32 s9, s13, 64
	v_bitop3_b32 v3, v3, v5, v4 bitop3:0x36
	v_and_b32_e32 v1, 32, v0
	.loc	1 32 25                         ; indirect_matmul.py:32:25
	s_sub_i32 s11, s5, 64
	v_xor_b32_e32 v3, s9, v3
	.loc	1 26 35                         ; indirect_matmul.py:26:35
	v_cmp_eq_u32_e64 s[0:1], 0, v1
	.loc	1 32 25                         ; indirect_matmul.py:32:25
	s_cmp_gt_i32 s11, 0
	v_xor_b32_e32 v22, 32, v3
	.loc	1 36 20                         ; indirect_matmul.py:36:20
	ds_write_b16 v31, v32 offset:1536
	ds_write_b16 v31, v34 offset:3584
	;; [unrolled: 1-line block ×4, first 2 shown]
	.loc	1 32 25                         ; indirect_matmul.py:32:25
	s_cbranch_scc1 .LBB0_67
; %bb.66:                               ; %.._crit_edge_crit_edge
	.loc	1 0 25 is_stmt 0                ; indirect_matmul.py:0:25
	s_mov_b64 s[6:7], 0
	s_branch .LBB0_68
.LBB0_67:
	s_mov_b64 s[6:7], -1
.LBB0_68:                               ; %Flow173
	s_and_b32 s10, s13, 0x80
	v_mov_b32_e32 v32, 0
	s_andn2_b64 vcc, exec, s[6:7]
	v_add_u32_e32 v25, 0, v3
	s_cbranch_vccnz .LBB0_71
; %bb.69:                               ; %.lr.ph
	v_mov_b32_e32 v4, 0x408
	v_cndmask_b32_e64 v4, v4, 0, s[0:1]
	v_and_b32_e32 v3, 62, v2
	s_lshr_b32 s6, s10, 1
	v_bitop3_b32 v2, v4, v2, 62 bitop3:0x78
	v_bitop3_b32 v3, s6, v4, v3 bitop3:0xf6
	;; [unrolled: 1-line block ×5, first 2 shown]
	.loc	1 32 25 is_stmt 1               ; indirect_matmul.py:32:25
	s_add_u32 s6, s14, s22
	s_addc_u32 s7, s15, 0
	s_add_u32 s6, s6, 0x1f0
	v_mov_b32_e32 v2, 0
	s_mov_b32 s13, 0
	s_addc_u32 s7, s7, 0
	v_add_u32_e32 v33, 0, v22
	v_add_u32_e32 v34, 0, v3
	;; [unrolled: 1-line block ×5, first 2 shown]
	s_mov_b32 s14, 0x5040100
	v_mov_b32_e32 v3, v2
	v_mov_b32_e32 v4, v2
	;; [unrolled: 1-line block ×15, first 2 shown]
.LBB0_70:                               ; =>This Inner Loop Header: Depth=1
	.loc	1 33 22                         ; indirect_matmul.py:33:22
	global_load_dword v82, v32, s[6:7] offset:-240
	global_load_dword v83, v32, s[6:7] offset:-224
	;; [unrolled: 1-line block ×15, first 2 shown]
	global_load_dword v97, v32, s[6:7]
	.loc	1 32 25                         ; indirect_matmul.py:32:25
	s_add_i32 s13, s13, 64
	s_add_u32 s6, s6, 0x100
	s_addc_u32 s7, s7, 0
	s_cmp_lt_i32 s13, s11
	.loc	1 35 44                         ; indirect_matmul.py:35:44
	s_waitcnt vmcnt(15)
	v_mul_lo_u32 v38, v82, s8
	s_waitcnt vmcnt(14)
	v_mul_lo_u32 v40, v83, s8
	;; [unrolled: 2-line block ×4, first 2 shown]
	.loc	1 35 29 is_stmt 0               ; indirect_matmul.py:35:29
	v_ashrrev_i32_e32 v39, 31, v38
	v_ashrrev_i32_e32 v41, 31, v40
	v_ashrrev_i32_e32 v43, 31, v42
	v_ashrrev_i32_e32 v45, 31, v44
	v_lshl_add_u64 v[38:39], v[38:39], 1, v[18:19]
	v_lshl_add_u64 v[40:41], v[40:41], 1, v[18:19]
	v_lshl_add_u64 v[42:43], v[42:43], 1, v[18:19]
	v_lshl_add_u64 v[44:45], v[44:45], 1, v[18:19]
	.loc	1 35 20                         ; indirect_matmul.py:35:20
	global_load_ushort v62, v[38:39], off
	global_load_ushort v63, v[40:41], off
	global_load_ushort v64, v[42:43], off
	global_load_ushort v65, v[44:45], off
	.loc	1 35 44                         ; indirect_matmul.py:35:44
	s_waitcnt vmcnt(15)
	v_mul_lo_u32 v38, v86, s8
	s_waitcnt vmcnt(14)
	v_mul_lo_u32 v40, v87, s8
	s_waitcnt vmcnt(13)
	v_mul_lo_u32 v42, v88, s8
	s_waitcnt vmcnt(12)
	v_mul_lo_u32 v44, v89, s8
	.loc	1 35 29                         ; indirect_matmul.py:35:29
	v_ashrrev_i32_e32 v39, 31, v38
	v_ashrrev_i32_e32 v41, 31, v40
	v_ashrrev_i32_e32 v43, 31, v42
	v_ashrrev_i32_e32 v45, 31, v44
	v_lshl_add_u64 v[38:39], v[38:39], 1, v[18:19]
	v_lshl_add_u64 v[40:41], v[40:41], 1, v[18:19]
	v_lshl_add_u64 v[42:43], v[42:43], 1, v[18:19]
	v_lshl_add_u64 v[44:45], v[44:45], 1, v[18:19]
	.loc	1 35 20                         ; indirect_matmul.py:35:20
	global_load_ushort v66, v[38:39], off
	global_load_ushort v67, v[40:41], off
	global_load_ushort v68, v[42:43], off
	global_load_ushort v69, v[44:45], off
	.loc	1 35 44                         ; indirect_matmul.py:35:44
	s_waitcnt vmcnt(15)
	v_mul_lo_u32 v38, v90, s8
	s_waitcnt vmcnt(14)
	v_mul_lo_u32 v40, v91, s8
	s_waitcnt vmcnt(13)
	v_mul_lo_u32 v42, v92, s8
	s_waitcnt vmcnt(12)
	v_mul_lo_u32 v44, v93, s8
	.loc	1 35 29                         ; indirect_matmul.py:35:29
	;; [unrolled: 23-line block ×3, first 2 shown]
	v_ashrrev_i32_e32 v39, 31, v38
	v_ashrrev_i32_e32 v41, 31, v40
	;; [unrolled: 1-line block ×4, first 2 shown]
	v_lshl_add_u64 v[38:39], v[38:39], 1, v[18:19]
	v_lshl_add_u64 v[40:41], v[40:41], 1, v[18:19]
	;; [unrolled: 1-line block ×4, first 2 shown]
	.loc	1 35 20                         ; indirect_matmul.py:35:20
	global_load_ushort v77, v[38:39], off
	global_load_ushort v76, v[40:41], off
	;; [unrolled: 1-line block ×4, first 2 shown]
	s_waitcnt lgkmcnt(0)
	s_barrier
	.loc	1 38 26 is_stmt 1               ; indirect_matmul.py:38:26
	ds_read_u16 v42, v36 offset:512
	ds_read_u16 v43, v36 offset:640
	ds_read_u16 v98, v36 offset:2560
	ds_read_u16 v99, v36 offset:2688
	ds_read_u16 v46, v36 offset:4608
	ds_read_u16 v47, v36 offset:4736
	ds_read_u16 v38, v36 offset:6656
	ds_read_u16 v39, v36 offset:6784
	ds_read_u16 v44, v37 offset:768
	ds_read_u16 v45, v37 offset:896
	ds_read_u16 v100, v37 offset:2816
	ds_read_u16 v101, v37 offset:2944
	ds_read_u16 v48, v37 offset:4864
	ds_read_u16 v49, v37 offset:4992
	ds_read_u16 v40, v37 offset:6912
	ds_read_u16 v41, v37 offset:7040
	s_waitcnt lgkmcnt(6)
	v_perm_b32 v81, v45, v44, s14
	v_perm_b32 v80, v43, v42, s14
	ds_read_u16 v44, v35 offset:256
	ds_read_u16 v45, v35 offset:384
	;; [unrolled: 1-line block ×8, first 2 shown]
	s_waitcnt lgkmcnt(6)
	v_perm_b32 v79, v45, v44, s14
	ds_read_u16 v54, v34
	ds_read_u16 v55, v34 offset:128
	ds_read_u16 v104, v34 offset:2048
	ds_read_u16 v105, v34 offset:2176
	ds_read_u16 v52, v34 offset:4096
	ds_read_u16 v53, v34 offset:4224
	ds_read_u16 v44, v34 offset:6144
	ds_read_u16 v45, v34 offset:6272
	s_waitcnt lgkmcnt(6)
	v_perm_b32 v78, v55, v54, s14
	.loc	1 35 20                         ; indirect_matmul.py:35:20
	ds_read_b64_tr_b16 v[108:109], v33 offset:8704
	ds_read_b64_tr_b16 v[106:107], v25 offset:8192
	;; [unrolled: 1-line block ×8, first 2 shown]
	.loc	1 38 26                         ; indirect_matmul.py:38:26
	s_waitcnt lgkmcnt(6)
	v_mfma_f32_32x32x16_f16 v[2:17], v[106:109], v[78:81], v[2:17]
	.loc	1 36 44                         ; indirect_matmul.py:36:44
	v_mul_lo_u32 v78, v82, s12
	.loc	1 36 29 is_stmt 0               ; indirect_matmul.py:36:29
	v_ashrrev_i32_e32 v79, 31, v78
	v_lshl_add_u64 v[78:79], v[78:79], 1, v[20:21]
	.loc	1 36 20                         ; indirect_matmul.py:36:20
	global_load_ushort v82, v[78:79], off
	.loc	1 36 44                         ; indirect_matmul.py:36:44
	v_mul_lo_u32 v78, v83, s12
	.loc	1 36 29                         ; indirect_matmul.py:36:29
	v_ashrrev_i32_e32 v79, 31, v78
	v_lshl_add_u64 v[78:79], v[78:79], 1, v[20:21]
	.loc	1 36 20                         ; indirect_matmul.py:36:20
	global_load_ushort v83, v[78:79], off
	.loc	1 36 44                         ; indirect_matmul.py:36:44
	v_mul_lo_u32 v78, v84, s12
	.loc	1 36 29                         ; indirect_matmul.py:36:29
	;; [unrolled: 7-line block ×15, first 2 shown]
	v_ashrrev_i32_e32 v79, 31, v78
	v_lshl_add_u64 v[78:79], v[78:79], 1, v[20:21]
	.loc	1 36 20                         ; indirect_matmul.py:36:20
	global_load_ushort v97, v[78:79], off
	.loc	1 38 26 is_stmt 1               ; indirect_matmul.py:38:26
	v_perm_b32 v81, v101, v100, s14
	v_perm_b32 v80, v99, v98, s14
	;; [unrolled: 1-line block ×6, first 2 shown]
	s_waitcnt lgkmcnt(2)
	v_mfma_f32_32x32x16_f16 v[2:17], v[110:113], v[78:81], v[2:17]
	v_perm_b32 v47, v51, v50, s14
	v_perm_b32 v46, v53, v52, s14
	;; [unrolled: 1-line block ×6, first 2 shown]
	.loc	1 35 20                         ; indirect_matmul.py:35:20
	s_waitcnt lgkmcnt(0)
	.loc	1 38 26                         ; indirect_matmul.py:38:26
	v_mfma_f32_32x32x16_f16 v[2:17], v[58:61], v[46:49], v[2:17]
	.loc	1 35 20                         ; indirect_matmul.py:35:20
	s_barrier
	s_waitcnt vmcnt(31)
	ds_write_b16 v23, v62 offset:8192
	s_waitcnt vmcnt(27)
	ds_write_b16 v23, v66 offset:10240
	;; [unrolled: 2-line block ×4, first 2 shown]
	ds_write_b16 v24, v63 offset:8704
	ds_write_b16 v24, v67 offset:10752
	ds_write_b16 v24, v71 offset:12800
	s_waitcnt vmcnt(18)
	ds_write_b16 v24, v76 offset:14848
	ds_write_b16 v26, v64 offset:9216
	ds_write_b16 v26, v68 offset:11264
	ds_write_b16 v26, v72 offset:13312
	s_waitcnt vmcnt(17)
	ds_write_b16 v26, v75 offset:15360
	;; [unrolled: 5-line block ×3, first 2 shown]
	.loc	1 36 20                         ; indirect_matmul.py:36:20
	s_waitcnt vmcnt(15)
	ds_write_b16 v28, v82
	s_waitcnt vmcnt(11)
	ds_write_b16 v28, v86 offset:2048
	s_waitcnt vmcnt(7)
	ds_write_b16 v28, v90 offset:4096
	;; [unrolled: 2-line block ×3, first 2 shown]
	ds_write_b16 v29, v83 offset:512
	ds_write_b16 v29, v87 offset:2560
	ds_write_b16 v29, v91 offset:4608
	s_waitcnt vmcnt(2)
	ds_write_b16 v29, v95 offset:6656
	ds_write_b16 v30, v84 offset:1024
	ds_write_b16 v30, v88 offset:3072
	ds_write_b16 v30, v92 offset:5120
	s_waitcnt vmcnt(1)
	ds_write_b16 v30, v96 offset:7168
	;; [unrolled: 5-line block ×3, first 2 shown]
	.loc	1 38 26                         ; indirect_matmul.py:38:26
	v_mfma_f32_32x32x16_f16 v[2:17], v[54:57], v[38:41], v[2:17]
	.loc	1 32 25                         ; indirect_matmul.py:32:25
	s_cbranch_scc1 .LBB0_70
	s_branch .LBB0_72
.LBB0_71:
	.loc	1 0 25 is_stmt 0                ; indirect_matmul.py:0:25
	v_mov_b32_e32 v17, 0
	v_mov_b32_e32 v16, v17
	;; [unrolled: 1-line block ×16, first 2 shown]
.LBB0_72:                               ; %._crit_edge
	.loc	1 32 25 is_stmt 1               ; indirect_matmul.py:32:25
	s_add_i32 s5, s5, 63
	s_cmp_lt_i32 s5, 64
	.loc	1 38 26                         ; indirect_matmul.py:38:26
	v_and_b32_e32 v0, 31, v0
	.loc	1 35 20                         ; indirect_matmul.py:35:20
	s_waitcnt lgkmcnt(0)
	s_barrier
	.loc	1 38 26                         ; indirect_matmul.py:38:26
	s_cbranch_scc1 .LBB0_74
; %bb.73:
	.loc	1 0 26 is_stmt 0                ; indirect_matmul.py:0:26
	v_add_u32_e32 v18, 0, v22
	.loc	1 38 26                         ; indirect_matmul.py:38:26
	v_mov_b32_e32 v19, 0x408
	ds_read_b64_tr_b16 v[46:47], v18 offset:8704
	ds_read_b64_tr_b16 v[50:51], v18 offset:10752
	;; [unrolled: 1-line block ×4, first 2 shown]
	s_lshr_b32 s5, s10, 1
	v_lshlrev_b32_e32 v18, 1, v0
	v_cndmask_b32_e64 v19, v19, 0, s[0:1]
	v_bitop3_b32 v18, s5, v19, v18 bitop3:0xf6
	v_xad_u32 v19, v18, 6, 0
	v_xad_u32 v21, v18, 4, 0
	;; [unrolled: 1-line block ×3, first 2 shown]
	v_add_u32_e32 v41, 0, v18
	ds_read_b64_tr_b16 v[44:45], v25 offset:8192
	ds_read_b64_tr_b16 v[48:49], v25 offset:10240
	;; [unrolled: 1-line block ×4, first 2 shown]
	ds_read_u16 v22, v19 offset:7040
	ds_read_u16 v23, v19 offset:6912
	;; [unrolled: 1-line block ×21, first 2 shown]
	ds_read_u16 v42, v41
	s_mov_b32 s0, 0x5040100
	s_waitcnt lgkmcnt(14)
	v_perm_b32 v21, v20, v19, s0
	s_waitcnt lgkmcnt(6)
	v_perm_b32 v20, v34, v35, s0
	;; [unrolled: 2-line block ×4, first 2 shown]
	s_nop 1
	v_mfma_f32_32x32x16_f16 v[2:17], v[44:47], v[18:21], v[2:17]
	ds_read_u16 v18, v41 offset:2176
	ds_read_u16 v34, v41 offset:2048
	;; [unrolled: 1-line block ×4, first 2 shown]
	v_perm_b32 v21, v26, v27, s0
	v_perm_b32 v20, v32, v33, s0
	;; [unrolled: 1-line block ×3, first 2 shown]
	s_waitcnt lgkmcnt(2)
	v_perm_b32 v18, v18, v34, s0
	s_nop 1
	v_mfma_f32_32x32x16_f16 v[2:17], v[48:51], v[18:21], v[2:17]
	ds_read_u16 v18, v36 offset:4480
	ds_read_u16 v19, v36 offset:4352
	;; [unrolled: 1-line block ×4, first 2 shown]
	v_perm_b32 v21, v24, v25, s0
	v_perm_b32 v20, v30, v31, s0
	s_waitcnt lgkmcnt(2)
	v_perm_b32 v19, v18, v19, s0
	v_perm_b32 v18, v35, v39, s0
	s_nop 1
	v_mfma_f32_32x32x16_f16 v[2:17], v[52:55], v[18:21], v[2:17]
	ds_read_u16 v18, v41 offset:6272
	ds_read_u16 v24, v41 offset:6144
	v_perm_b32 v21, v22, v23, s0
	v_perm_b32 v20, v28, v29, s0
	s_waitcnt lgkmcnt(2)
	v_perm_b32 v19, v26, v27, s0
	s_waitcnt lgkmcnt(0)
	v_perm_b32 v18, v18, v24, s0
	s_nop 1
	v_mfma_f32_32x32x16_f16 v[2:17], v[56:59], v[18:21], v[2:17]
.LBB0_74:                               ; %._crit_edge._crit_edge
	.loc	1 26 35 is_stmt 1               ; indirect_matmul.py:26:35
	v_lshrrev_b32_e32 v1, 3, v1
	s_lshr_b32 s0, s9, 1
	v_or_b32_e32 v18, s0, v1
	.loc	1 42 28                         ; indirect_matmul.py:42:28
	s_lshr_b32 s0, s10, 2
	v_or_b32_e32 v0, s0, v0
	.loc	1 26 35                         ; indirect_matmul.py:26:35
	v_or_b32_e32 v19, 27, v18
	v_or_b32_e32 v21, 26, v18
	;; [unrolled: 1-line block ×15, first 2 shown]
	.loc	1 42 21                         ; indirect_matmul.py:42:21
	v_lshlrev_b32_e32 v0, 2, v0
	v_mov_b32_e32 v1, 0
	.loc	1 42 48 is_stmt 0               ; indirect_matmul.py:42:48
	v_mul_lo_u32 v18, v18, s4
	.loc	1 42 21                         ; indirect_matmul.py:42:21
	v_lshl_add_u64 v[0:1], s[2:3], 0, v[0:1]
	.loc	1 42 48                         ; indirect_matmul.py:42:48
	v_mul_lo_u32 v20, v20, s4
	v_mul_lo_u32 v22, v22, s4
	;; [unrolled: 1-line block ×15, first 2 shown]
	.loc	1 42 39                         ; indirect_matmul.py:42:39
	v_ashrrev_i32_e32 v19, 31, v18
	v_lshl_add_u64 v[18:19], v[18:19], 2, v[0:1]
	v_ashrrev_i32_e32 v21, 31, v20
	v_ashrrev_i32_e32 v23, 31, v22
	v_ashrrev_i32_e32 v25, 31, v24
	v_ashrrev_i32_e32 v27, 31, v26
	v_ashrrev_i32_e32 v29, 31, v28
	v_ashrrev_i32_e32 v31, 31, v30
	v_ashrrev_i32_e32 v33, 31, v32
	v_ashrrev_i32_e32 v35, 31, v34
	v_ashrrev_i32_e32 v37, 31, v36
	v_ashrrev_i32_e32 v39, 31, v38
	v_ashrrev_i32_e32 v41, 31, v40
	v_ashrrev_i32_e32 v43, 31, v42
	v_ashrrev_i32_e32 v45, 31, v44
	v_ashrrev_i32_e32 v47, 31, v46
	v_ashrrev_i32_e32 v49, 31, v48
	v_lshl_add_u64 v[20:21], v[20:21], 2, v[0:1]
	v_lshl_add_u64 v[22:23], v[22:23], 2, v[0:1]
	;; [unrolled: 1-line block ×15, first 2 shown]
	.loc	1 43 23 is_stmt 1               ; indirect_matmul.py:43:23
	global_store_dword v[18:19], v2, off
	global_store_dword v[20:21], v3, off
	global_store_dword v[22:23], v4, off
	global_store_dword v[24:25], v5, off
	global_store_dword v[26:27], v6, off
	global_store_dword v[28:29], v7, off
	global_store_dword v[30:31], v8, off
	global_store_dword v[32:33], v9, off
	global_store_dword v[34:35], v10, off
	global_store_dword v[36:37], v11, off
	global_store_dword v[38:39], v12, off
	global_store_dword v[40:41], v13, off
	global_store_dword v[42:43], v14, off
	global_store_dword v[44:45], v15, off
	global_store_dword v[46:47], v16, off
	global_store_dword v[0:1], v17, off
	.loc	1 43 4 is_stmt 0                ; indirect_matmul.py:43:4
	s_endpgm
.Ltmp2:
	.section	.rodata,"a",@progbits
	.p2align	6, 0x0
	.amdhsa_kernel indirect_matmul_kernel
		.amdhsa_group_segment_fixed_size 0
		.amdhsa_private_segment_fixed_size 0
		.amdhsa_kernarg_size 80
		.amdhsa_user_sgpr_count 16
		.amdhsa_user_sgpr_dispatch_ptr 0
		.amdhsa_user_sgpr_queue_ptr 0
		.amdhsa_user_sgpr_kernarg_segment_ptr 1
		.amdhsa_user_sgpr_dispatch_id 0
		.amdhsa_user_sgpr_kernarg_preload_length 14
		.amdhsa_user_sgpr_kernarg_preload_offset 0
		.amdhsa_user_sgpr_private_segment_size 0
		.amdhsa_uses_dynamic_stack 0
		.amdhsa_enable_private_segment 0
		.amdhsa_system_sgpr_workgroup_id_x 1
		.amdhsa_system_sgpr_workgroup_id_y 0
		.amdhsa_system_sgpr_workgroup_id_z 0
		.amdhsa_system_sgpr_workgroup_info 0
		.amdhsa_system_vgpr_workitem_id 0
		.amdhsa_next_free_vgpr 114
		.amdhsa_next_free_sgpr 38
		.amdhsa_accum_offset 116
		.amdhsa_reserve_vcc 1
		.amdhsa_reserve_xnack_mask 1
		.amdhsa_float_round_mode_32 0
		.amdhsa_float_round_mode_16_64 0
		.amdhsa_float_denorm_mode_32 3
		.amdhsa_float_denorm_mode_16_64 3
		.amdhsa_dx10_clamp 1
		.amdhsa_ieee_mode 1
		.amdhsa_fp16_overflow 0
		.amdhsa_tg_split 0
		.amdhsa_exception_fp_ieee_invalid_op 0
		.amdhsa_exception_fp_denorm_src 0
		.amdhsa_exception_fp_ieee_div_zero 0
		.amdhsa_exception_fp_ieee_overflow 0
		.amdhsa_exception_fp_ieee_underflow 0
		.amdhsa_exception_fp_ieee_inexact 0
		.amdhsa_exception_int_div_zero 0
	.end_amdhsa_kernel
	.text
.Lfunc_end0:
	.size	indirect_matmul_kernel, .Lfunc_end0-indirect_matmul_kernel
	.cfi_endproc
                                        ; -- End function
	.set indirect_matmul_kernel.num_vgpr, 114
	.set indirect_matmul_kernel.num_agpr, 0
	.set indirect_matmul_kernel.numbered_sgpr, 38
	.set indirect_matmul_kernel.num_named_barrier, 0
	.set indirect_matmul_kernel.private_seg_size, 0
	.set indirect_matmul_kernel.uses_vcc, 1
	.set indirect_matmul_kernel.uses_flat_scratch, 0
	.set indirect_matmul_kernel.has_dyn_sized_stack, 0
	.set indirect_matmul_kernel.has_recursion, 0
	.set indirect_matmul_kernel.has_indirect_call, 0
	.section	.AMDGPU.csdata,"",@progbits
; Kernel info:
; codeLenInByte = 6196
; TotalNumSgprs: 44
; NumVgprs: 114
; NumAgprs: 0
; TotalNumVgprs: 114
; ScratchSize: 0
; MemoryBound: 0
; FloatMode: 240
; IeeeMode: 1
; LDSByteSize: 0 bytes/workgroup (compile time only)
; SGPRBlocks: 5
; VGPRBlocks: 14
; NumSGPRsForWavesPerEU: 44
; NumVGPRsForWavesPerEU: 114
; AccumOffset: 116
; Occupancy: 4
; WaveLimiterHint : 1
; COMPUTE_PGM_RSRC2:SCRATCH_EN: 0
; COMPUTE_PGM_RSRC2:USER_SGPR: 16
; COMPUTE_PGM_RSRC2:TRAP_HANDLER: 0
; COMPUTE_PGM_RSRC2:TGID_X_EN: 1
; COMPUTE_PGM_RSRC2:TGID_Y_EN: 0
; COMPUTE_PGM_RSRC2:TGID_Z_EN: 0
; COMPUTE_PGM_RSRC2:TIDIG_COMP_CNT: 0
; COMPUTE_PGM_RSRC3_GFX90A:ACCUM_OFFSET: 28
; COMPUTE_PGM_RSRC3_GFX90A:TG_SPLIT: 0
	.text
	.p2alignl 6, 3212836864
	.fill 256, 4, 3212836864
	.section	.AMDGPU.gpr_maximums,"",@progbits
	.set amdgpu.max_num_vgpr, 0
	.set amdgpu.max_num_agpr, 0
	.set amdgpu.max_num_sgpr, 0
	.set amdgpu.max_num_named_barrier, 0
	.text
	.section	.debug_abbrev,"",@progbits
	.byte	1                               ; Abbreviation Code
	.byte	17                              ; DW_TAG_compile_unit
	.byte	0                               ; DW_CHILDREN_no
	.byte	37                              ; DW_AT_producer
	.byte	14                              ; DW_FORM_strp
	.byte	19                              ; DW_AT_language
	.byte	5                               ; DW_FORM_data2
	.byte	3                               ; DW_AT_name
	.byte	14                              ; DW_FORM_strp
	.byte	16                              ; DW_AT_stmt_list
	.byte	23                              ; DW_FORM_sec_offset
	.byte	27                              ; DW_AT_comp_dir
	.byte	14                              ; DW_FORM_strp
	.byte	17                              ; DW_AT_low_pc
	.byte	1                               ; DW_FORM_addr
	.byte	18                              ; DW_AT_high_pc
	.byte	6                               ; DW_FORM_data4
	.byte	0                               ; EOM(1)
	.byte	0                               ; EOM(2)
	;; [unrolled: 1-line block ×3, first 2 shown]
	.section	.debug_info,"",@progbits
.Lcu_begin0:
	.long	.Ldebug_info_end0-.Ldebug_info_start0 ; Length of Unit
.Ldebug_info_start0:
	.short	4                               ; DWARF version number
	.long	.debug_abbrev                   ; Offset Into Abbrev. Section
	.byte	8                               ; Address Size (in bytes)
	.byte	1                               ; Abbrev [1] 0xb:0x1f DW_TAG_compile_unit
	.long	.Linfo_string0                  ; DW_AT_producer
	.short	2                               ; DW_AT_language
	.long	.Linfo_string1                  ; DW_AT_name
	.long	.Lline_table_start0             ; DW_AT_stmt_list
	.long	.Linfo_string2                  ; DW_AT_comp_dir
	.quad	.Lfunc_begin0                   ; DW_AT_low_pc
	.long	.Lfunc_end0-.Lfunc_begin0       ; DW_AT_high_pc
.Ldebug_info_end0:
	.section	.debug_str,"MS",@progbits,1
.Linfo_string0:
	.asciz	"triton"                        ; string offset=0
.Linfo_string1:
	.asciz	"indirect_matmul.py"            ; string offset=7
.Linfo_string2:
	.asciz	"/root/src/amdgpu-assembly/repos/triton-lang__triton-aot" ; string offset=26
	.section	".note.GNU-stack","",@progbits
	.amdgpu_metadata
---
amdhsa.kernels:
  - .agpr_count:     0
    .args:
      - .address_space:  global
        .offset:         0
        .size:           8
        .value_kind:     global_buffer
      - .offset:         8
        .size:           4
        .value_kind:     by_value
      - .address_space:  global
        .offset:         16
        .size:           8
        .value_kind:     global_buffer
      - .offset:         24
        .size:           4
        .value_kind:     by_value
      - .address_space:  global
        .offset:         32
        .size:           8
        .value_kind:     global_buffer
      - .offset:         40
        .size:           4
        .value_kind:     by_value
      - .address_space:  global
        .offset:         48
        .size:           8
        .value_kind:     global_buffer
      - .offset:         56
        .size:           4
        .value_kind:     by_value
      - .address_space:  global
        .offset:         64
        .size:           8
        .value_kind:     global_buffer
      - .address_space:  global
        .offset:         72
        .size:           8
        .value_kind:     global_buffer
    .group_segment_fixed_size: 0
    .kernarg_segment_align: 8
    .kernarg_segment_size: 80
    .max_flat_workgroup_size: 256
    .name:           indirect_matmul_kernel
    .private_segment_fixed_size: 0
    .sgpr_count:     44
    .sgpr_spill_count: 0
    .symbol:         indirect_matmul_kernel.kd
    .uniform_work_group_size: 1
    .uses_dynamic_stack: false
    .vgpr_count:     114
    .vgpr_spill_count: 0
    .wavefront_size: 64
amdhsa.target:   amdgcn-amd-amdhsa--gfx950
amdhsa.version:
  - 1
  - 2
...

	.end_amdgpu_metadata
	.section	.debug_line,"",@progbits
.Lline_table_start0:
